;; amdgpu-corpus repo=ROCm/rocFFT kind=compiled arch=gfx1030 opt=O3
	.text
	.amdgcn_target "amdgcn-amd-amdhsa--gfx1030"
	.amdhsa_code_object_version 6
	.protected	bluestein_single_back_len264_dim1_dp_op_CI_CI ; -- Begin function bluestein_single_back_len264_dim1_dp_op_CI_CI
	.globl	bluestein_single_back_len264_dim1_dp_op_CI_CI
	.p2align	8
	.type	bluestein_single_back_len264_dim1_dp_op_CI_CI,@function
bluestein_single_back_len264_dim1_dp_op_CI_CI: ; @bluestein_single_back_len264_dim1_dp_op_CI_CI
; %bb.0:
	s_load_dwordx4 s[12:15], s[4:5], 0x28
	v_mul_u32_u24_e32 v1, 0x7c2, v0
	s_mov_b64 s[42:43], s[2:3]
	s_mov_b64 s[40:41], s[0:1]
	s_mov_b32 s0, exec_lo
	s_add_u32 s40, s40, s7
	v_lshrrev_b32_e32 v1, 16, v1
	s_addc_u32 s41, s41, 0
	v_mad_u64_u32 v[140:141], null, s6, 7, v[1:2]
	v_mov_b32_e32 v141, 0
	s_waitcnt lgkmcnt(0)
	v_cmpx_gt_u64_e64 s[12:13], v[140:141]
	s_cbranch_execz .LBB0_18
; %bb.1:
	s_clause 0x1
	s_load_dwordx4 s[8:11], s[4:5], 0x18
	s_load_dwordx4 s[0:3], s[4:5], 0x0
	v_mul_lo_u16 v1, v1, 33
	v_mul_hi_u32 v65, 0x24924925, v140
	s_load_dwordx2 s[4:5], s[4:5], 0x38
	v_sub_nc_u16 v36, v0, v1
	v_sub_nc_u32_e32 v66, v140, v65
	v_and_b32_e32 v193, 0xffff, v36
	v_lshrrev_b32_e32 v66, 1, v66
	v_lshlrev_b32_e32 v97, 4, v193
	s_waitcnt lgkmcnt(0)
	s_load_dwordx4 s[16:19], s[8:9], 0x0
	v_add_nc_u32_e32 v65, v66, v65
	v_add_co_u32 v186, s6, s0, v97
	v_add_co_ci_u32_e64 v255, null, s1, 0, s6
	v_lshrrev_b32_e32 v65, 2, v65
	v_mul_lo_u32 v98, v65, 7
	v_sub_nc_u32_e32 v98, v140, v98
	s_waitcnt lgkmcnt(0)
	v_mad_u64_u32 v[8:9], null, s16, v193, 0
	v_mad_u64_u32 v[0:1], null, s18, v140, 0
	s_mul_i32 s6, s17, 0x210
	s_mul_hi_u32 s7, s16, 0x210
	s_mul_i32 s8, s16, 0x210
	s_add_i32 s7, s7, s6
	v_mov_b32_e32 v2, v9
	v_mul_u32_u24_e32 v98, 0x108, v98
	v_mad_u64_u32 v[3:4], null, s19, v140, v[1:2]
	v_lshlrev_b32_e32 v253, 4, v98
	v_add_nc_u32_e32 v254, v97, v253
	v_mad_u64_u32 v[4:5], null, s17, v193, v[2:3]
	v_mov_b32_e32 v1, v3
	v_lshlrev_b64 v[10:11], 4, v[0:1]
	v_mov_b32_e32 v9, v4
	s_clause 0x1
	global_load_dwordx4 v[0:3], v97, s[0:1]
	global_load_dwordx4 v[4:7], v97, s[0:1] offset:528
	v_add_co_u32 v10, vcc_lo, s14, v10
	v_lshlrev_b64 v[8:9], 4, v[8:9]
	v_add_co_ci_u32_e32 v11, vcc_lo, s15, v11, vcc_lo
	v_add_co_u32 v24, vcc_lo, v10, v8
	v_add_co_ci_u32_e32 v25, vcc_lo, v11, v9, vcc_lo
	s_clause 0x1
	global_load_dwordx4 v[8:11], v97, s[0:1] offset:1056
	global_load_dwordx4 v[12:15], v97, s[0:1] offset:1584
	v_add_co_u32 v26, vcc_lo, v24, s8
	v_add_co_ci_u32_e32 v27, vcc_lo, s7, v25, vcc_lo
	s_mov_b32 s0, 0x667f3bcd
	v_add_co_u32 v28, vcc_lo, v26, s8
	v_add_co_ci_u32_e32 v29, vcc_lo, s7, v27, vcc_lo
	v_add_co_u32 v30, vcc_lo, 0x800, v186
	v_add_co_ci_u32_e32 v31, vcc_lo, 0, v255, vcc_lo
	s_clause 0x1
	global_load_dwordx4 v[16:19], v[30:31], off offset:64
	global_load_dwordx4 v[20:23], v[30:31], off offset:592
	s_clause 0x2
	global_load_dwordx4 v[32:35], v[24:25], off
	global_load_dwordx4 v[37:40], v[26:27], off
	;; [unrolled: 1-line block ×3, first 2 shown]
	v_add_co_u32 v45, vcc_lo, v28, s8
	v_add_co_ci_u32_e32 v46, vcc_lo, s7, v29, vcc_lo
	s_mov_b32 s1, 0xbfe6a09e
	v_add_co_u32 v49, vcc_lo, v45, s8
	v_add_co_ci_u32_e32 v50, vcc_lo, s7, v46, vcc_lo
	s_mov_b32 s6, s0
	v_add_co_u32 v24, vcc_lo, v49, s8
	v_add_co_ci_u32_e32 v25, vcc_lo, s7, v50, vcc_lo
	s_clause 0x1
	global_load_dwordx4 v[45:48], v[45:46], off
	global_load_dwordx4 v[49:52], v[49:50], off
	v_add_co_u32 v26, vcc_lo, v24, s8
	v_add_co_ci_u32_e32 v27, vcc_lo, s7, v25, vcc_lo
	v_add_co_u32 v61, vcc_lo, v26, s8
	v_add_co_ci_u32_e32 v62, vcc_lo, s7, v27, vcc_lo
	global_load_dwordx4 v[53:56], v[24:25], off
	global_load_dwordx4 v[57:60], v[26:27], off
	s_clause 0x1
	global_load_dwordx4 v[24:27], v[30:31], off offset:1120
	global_load_dwordx4 v[28:31], v[30:31], off offset:1648
	global_load_dwordx4 v[61:64], v[61:62], off
	s_mov_b32 s7, 0x3fe6a09e
	v_cmp_gt_u16_e32 vcc_lo, 22, v36
	s_waitcnt vmcnt(8)
	v_mul_f64 v[69:70], v[39:40], v[6:7]
	v_mul_f64 v[65:66], v[34:35], v[2:3]
	s_waitcnt vmcnt(7)
	v_mul_f64 v[73:74], v[43:44], v[10:11]
	v_mul_f64 v[67:68], v[32:33], v[2:3]
	;; [unrolled: 1-line block ×4, first 2 shown]
	s_waitcnt vmcnt(6)
	v_mul_f64 v[77:78], v[47:48], v[14:15]
	v_mul_f64 v[79:80], v[45:46], v[14:15]
	s_waitcnt vmcnt(5)
	v_mul_f64 v[81:82], v[51:52], v[18:19]
	v_mul_f64 v[83:84], v[49:50], v[18:19]
	v_fma_f64 v[37:38], v[37:38], v[4:5], v[69:70]
	v_fma_f64 v[32:33], v[32:33], v[0:1], v[65:66]
	buffer_store_dword v0, off, s[40:43], 0 ; 4-byte Folded Spill
	buffer_store_dword v1, off, s[40:43], 0 offset:4 ; 4-byte Folded Spill
	buffer_store_dword v2, off, s[40:43], 0 offset:8 ; 4-byte Folded Spill
	;; [unrolled: 1-line block ×7, first 2 shown]
	v_fma_f64 v[41:42], v[41:42], v[8:9], v[73:74]
	buffer_store_dword v8, off, s[40:43], 0 offset:32 ; 4-byte Folded Spill
	buffer_store_dword v9, off, s[40:43], 0 offset:36 ; 4-byte Folded Spill
	;; [unrolled: 1-line block ×4, first 2 shown]
	s_waitcnt vmcnt(4)
	v_mul_f64 v[85:86], v[55:56], v[22:23]
	v_mul_f64 v[87:88], v[53:54], v[22:23]
	s_waitcnt vmcnt(2)
	v_mul_f64 v[89:90], v[59:60], v[26:27]
	v_mul_f64 v[91:92], v[57:58], v[26:27]
	;; [unrolled: 3-line block ×3, first 2 shown]
	s_load_dwordx4 s[8:11], s[10:11], 0x0
	v_fma_f64 v[45:46], v[45:46], v[12:13], v[77:78]
	v_fma_f64 v[47:48], v[47:48], v[12:13], -v[79:80]
	v_fma_f64 v[49:50], v[49:50], v[16:17], v[81:82]
	v_fma_f64 v[51:52], v[51:52], v[16:17], -v[83:84]
	;; [unrolled: 2-line block ×5, first 2 shown]
                                        ; implicit-def: $vgpr88_vgpr89
	v_fma_f64 v[34:35], v[34:35], v[0:1], -v[67:68]
	v_fma_f64 v[39:40], v[39:40], v[4:5], -v[71:72]
	v_lshlrev_b16 v67, 3, v36
	v_fma_f64 v[43:44], v[43:44], v[8:9], -v[75:76]
	ds_write_b128 v254, v[32:35]
	ds_write_b128 v254, v[37:40] offset:528
	ds_write_b128 v254, v[41:44] offset:1056
	;; [unrolled: 1-line block ×7, first 2 shown]
	s_waitcnt lgkmcnt(0)
	s_waitcnt_vscnt null, 0x0
	s_barrier
	buffer_gl0_inv
	ds_read_b128 v[32:35], v254 offset:2112
	ds_read_b128 v[37:40], v254
	ds_read_b128 v[41:44], v254 offset:1056
	ds_read_b128 v[45:48], v254 offset:3168
	;; [unrolled: 1-line block ×6, first 2 shown]
	s_waitcnt lgkmcnt(0)
	s_barrier
	buffer_gl0_inv
	v_add_f64 v[32:33], v[37:38], -v[32:33]
	v_add_f64 v[34:35], v[39:40], -v[34:35]
	;; [unrolled: 1-line block ×8, first 2 shown]
	v_fma_f64 v[37:38], v[37:38], 2.0, -v[32:33]
	v_fma_f64 v[39:40], v[39:40], 2.0, -v[34:35]
	;; [unrolled: 1-line block ×6, first 2 shown]
	v_add_f64 v[65:66], v[32:33], -v[47:48]
	v_add_f64 v[72:73], v[34:35], v[45:46]
	v_fma_f64 v[45:46], v[57:58], 2.0, -v[61:62]
	v_fma_f64 v[47:48], v[59:60], 2.0, -v[63:64]
	v_add_f64 v[57:58], v[53:54], -v[63:64]
	v_add_f64 v[59:60], v[55:56], v[61:62]
	v_add_f64 v[61:62], v[37:38], -v[41:42]
	v_add_f64 v[63:64], v[39:40], -v[43:44]
	v_fma_f64 v[74:75], v[32:33], 2.0, -v[65:66]
	v_fma_f64 v[76:77], v[34:35], 2.0, -v[72:73]
	v_add_f64 v[34:35], v[49:50], -v[45:46]
	v_add_f64 v[32:33], v[51:52], -v[47:48]
	v_fma_f64 v[43:44], v[53:54], 2.0, -v[57:58]
	v_fma_f64 v[41:42], v[55:56], 2.0, -v[59:60]
	v_fma_f64 v[45:46], v[57:58], s[6:7], v[65:66]
	v_fma_f64 v[47:48], v[59:60], s[6:7], v[72:73]
	v_fma_f64 v[53:54], v[37:38], 2.0, -v[61:62]
	v_fma_f64 v[55:56], v[39:40], 2.0, -v[63:64]
	;; [unrolled: 1-line block ×4, first 2 shown]
	v_fma_f64 v[49:50], v[43:44], s[0:1], v[74:75]
	v_fma_f64 v[51:52], v[41:42], s[0:1], v[76:77]
	v_add_f64 v[32:33], v[61:62], -v[32:33]
	v_add_f64 v[34:35], v[63:64], v[34:35]
	v_fma_f64 v[68:69], v[59:60], s[0:1], v[45:46]
	v_fma_f64 v[70:71], v[57:58], s[6:7], v[47:48]
	v_add_f64 v[37:38], v[53:54], -v[37:38]
	v_add_f64 v[39:40], v[55:56], -v[39:40]
	v_fma_f64 v[41:42], v[41:42], s[0:1], v[49:50]
	v_fma_f64 v[43:44], v[43:44], s[6:7], v[51:52]
	v_fma_f64 v[45:46], v[61:62], 2.0, -v[32:33]
	v_fma_f64 v[47:48], v[63:64], 2.0, -v[34:35]
	v_fma_f64 v[49:50], v[65:66], 2.0, -v[68:69]
	v_fma_f64 v[51:52], v[72:73], 2.0, -v[70:71]
	v_and_b32_e32 v61, 0xffff, v67
	v_lshl_add_u32 v179, v61, 4, v253
	v_fma_f64 v[53:54], v[53:54], 2.0, -v[37:38]
	v_fma_f64 v[55:56], v[55:56], 2.0, -v[39:40]
	;; [unrolled: 1-line block ×4, first 2 shown]
	ds_write_b128 v179, v[32:35] offset:96
	ds_write_b128 v179, v[68:71] offset:112
	;; [unrolled: 1-line block ×6, first 2 shown]
	ds_write_b128 v179, v[53:56]
	ds_write_b128 v179, v[57:60] offset:16
	s_waitcnt lgkmcnt(0)
	s_barrier
	buffer_gl0_inv
	ds_read_b128 v[64:67], v254
	ds_read_b128 v[60:63], v254 offset:528
	ds_read_b128 v[80:83], v254 offset:1408
	ds_read_b128 v[72:75], v254 offset:1936
	ds_read_b128 v[84:87], v254 offset:2816
	ds_read_b128 v[76:79], v254 offset:3344
	s_and_saveexec_b32 s0, vcc_lo
	s_cbranch_execz .LBB0_3
; %bb.2:
	ds_read_b128 v[32:35], v254 offset:1056
	ds_read_b128 v[68:71], v254 offset:2464
	;; [unrolled: 1-line block ×3, first 2 shown]
.LBB0_3:
	s_or_b32 exec_lo, exec_lo, s0
	v_add_nc_u32_e32 v120, 33, v193
	v_add_co_u32 v122, null, 0x42, v193
	v_and_b32_e32 v121, 7, v193
	s_mov_b32 s0, 0xe8584caa
	v_and_b32_e32 v123, 7, v120
	v_and_b32_e32 v194, 7, v122
	s_mov_b32 s1, 0x3febb67a
	v_lshlrev_b32_e32 v36, 5, v121
	s_mov_b32 s7, 0xbfebb67a
	v_lshlrev_b32_e32 v37, 5, v123
	v_lshlrev_b32_e32 v52, 5, v194
	s_clause 0x1
	global_load_dwordx4 v[48:51], v36, s[2:3]
	global_load_dwordx4 v[44:47], v36, s[2:3] offset:16
	s_mov_b32 s6, s0
	s_clause 0x3
	global_load_dwordx4 v[40:43], v37, s[2:3]
	global_load_dwordx4 v[36:39], v37, s[2:3] offset:16
	global_load_dwordx4 v[56:59], v52, s[2:3]
	global_load_dwordx4 v[52:55], v52, s[2:3] offset:16
	v_lshrrev_b32_e32 v124, 3, v193
	v_lshrrev_b32_e32 v120, 3, v120
	;; [unrolled: 1-line block ×3, first 2 shown]
	s_waitcnt vmcnt(0) lgkmcnt(0)
	s_barrier
	buffer_gl0_inv
	v_mul_f64 v[92:93], v[82:83], v[50:51]
	v_mul_f64 v[94:95], v[80:81], v[50:51]
	;; [unrolled: 1-line block ×12, first 2 shown]
	v_fma_f64 v[80:81], v[80:81], v[48:49], -v[92:93]
	v_fma_f64 v[82:83], v[82:83], v[48:49], v[94:95]
	v_fma_f64 v[84:85], v[84:85], v[44:45], -v[96:97]
	v_fma_f64 v[86:87], v[86:87], v[44:45], v[98:99]
	;; [unrolled: 2-line block ×6, first 2 shown]
	v_add_f64 v[104:105], v[64:65], v[80:81]
	v_add_f64 v[92:93], v[80:81], v[84:85]
	;; [unrolled: 1-line block ×3, first 2 shown]
	v_add_f64 v[106:107], v[82:83], -v[86:87]
	v_add_f64 v[82:83], v[66:67], v[82:83]
	v_add_f64 v[96:97], v[72:73], v[76:77]
	;; [unrolled: 1-line block ×3, first 2 shown]
	v_add_f64 v[112:113], v[80:81], -v[84:85]
	v_add_f64 v[80:81], v[60:61], v[72:73]
	v_add_f64 v[100:101], v[68:69], v[88:89]
	;; [unrolled: 1-line block ×6, first 2 shown]
	v_add_f64 v[74:75], v[74:75], -v[78:79]
	v_add_f64 v[72:73], v[72:73], -v[76:77]
	;; [unrolled: 1-line block ×4, first 2 shown]
	v_add_f64 v[108:109], v[104:105], v[84:85]
	v_fma_f64 v[64:65], v[92:93], -0.5, v[64:65]
	v_fma_f64 v[66:67], v[94:95], -0.5, v[66:67]
	v_add_f64 v[110:111], v[82:83], v[86:87]
	v_fma_f64 v[60:61], v[96:97], -0.5, v[60:61]
	v_fma_f64 v[62:63], v[98:99], -0.5, v[62:63]
	;; [unrolled: 3-line block ×3, first 2 shown]
	v_add_f64 v[82:83], v[114:115], v[78:79]
	v_add_f64 v[96:97], v[116:117], v[88:89]
	;; [unrolled: 1-line block ×3, first 2 shown]
	v_fma_f64 v[76:77], v[106:107], s[0:1], v[64:65]
	v_fma_f64 v[84:85], v[106:107], s[6:7], v[64:65]
	;; [unrolled: 1-line block ×12, first 2 shown]
	v_mul_u32_u24_e32 v32, 24, v124
	v_mul_u32_u24_e32 v33, 24, v120
	v_or_b32_e32 v32, v32, v121
	v_or_b32_e32 v33, v33, v123
	v_lshl_add_u32 v0, v32, 4, v253
	v_lshl_add_u32 v1, v33, 4, v253
	ds_write_b128 v0, v[108:111]
	ds_write_b128 v0, v[76:79] offset:128
	ds_write_b128 v0, v[84:87] offset:256
	ds_write_b128 v1, v[80:83]
	ds_write_b128 v1, v[88:91] offset:128
	ds_write_b128 v1, v[100:103] offset:256
	s_and_saveexec_b32 s0, vcc_lo
	s_cbranch_execz .LBB0_5
; %bb.4:
	v_mul_u32_u24_e32 v32, 24, v195
	v_or_b32_e32 v32, v32, v194
	v_lshl_add_u32 v32, v32, 4, v253
	ds_write_b128 v32, v[96:99]
	ds_write_b128 v32, v[92:95] offset:128
	ds_write_b128 v32, v[104:107] offset:256
.LBB0_5:
	s_or_b32 exec_lo, exec_lo, s0
	v_cmp_gt_u16_e64 s0, 24, v193
	s_waitcnt lgkmcnt(0)
	s_barrier
	buffer_gl0_inv
                                        ; implicit-def: $vgpr112_vgpr113
                                        ; implicit-def: $vgpr116_vgpr117
	s_and_saveexec_b32 s1, s0
	s_cbranch_execz .LBB0_7
; %bb.6:
	ds_read_b128 v[108:111], v254
	ds_read_b128 v[76:79], v254 offset:384
	ds_read_b128 v[84:87], v254 offset:768
	;; [unrolled: 1-line block ×10, first 2 shown]
.LBB0_7:
	s_or_b32 exec_lo, exec_lo, s1
	v_subrev_nc_u32_e32 v32, 24, v193
	s_mov_b32 s26, 0xfd768dbf
	s_mov_b32 s27, 0x3fd207e7
	;; [unrolled: 1-line block ×4, first 2 shown]
	v_cndmask_b32_e64 v32, v32, v193, s0
	s_mov_b32 s6, 0x8764f0ba
	s_mov_b32 s12, 0x8eee2c13
	;; [unrolled: 1-line block ×4, first 2 shown]
	v_mul_i32_i24_e32 v33, 0xa0, v32
	v_mul_hi_i32_i24_e32 v32, 0xa0, v32
	s_mov_b32 s16, 0x43842ef
	s_mov_b32 s17, 0xbfefac9e
	;; [unrolled: 1-line block ×3, first 2 shown]
	v_add_co_u32 v141, s1, s2, v33
	v_add_co_ci_u32_e64 v142, s1, s3, v32, s1
	s_mov_b32 s2, 0xd9c712b6
	s_mov_b32 s3, 0x3fda9628
	;; [unrolled: 1-line block ×3, first 2 shown]
	s_clause 0x4
	global_load_dwordx4 v[32:35], v[141:142], off offset:256
	global_load_dwordx4 v[68:71], v[141:142], off offset:400
	;; [unrolled: 1-line block ×5, first 2 shown]
	s_mov_b32 s28, 0xbb3a28a1
	s_mov_b32 s29, 0xbfe82f19
	;; [unrolled: 1-line block ×14, first 2 shown]
	s_waitcnt vmcnt(4) lgkmcnt(9)
	v_mul_f64 v[120:121], v[76:77], v[34:35]
	v_mul_f64 v[122:123], v[78:79], v[34:35]
	s_waitcnt vmcnt(3) lgkmcnt(0)
	v_mul_f64 v[124:125], v[116:117], v[70:71]
	v_mul_f64 v[126:127], v[118:119], v[70:71]
	v_fma_f64 v[151:152], v[78:79], v[32:33], v[120:121]
	v_fma_f64 v[149:150], v[76:77], v[32:33], -v[122:123]
	s_waitcnt vmcnt(2)
	v_mul_f64 v[76:77], v[86:87], v[62:63]
	v_mul_f64 v[78:79], v[84:85], v[62:63]
	v_fma_f64 v[2:3], v[118:119], v[68:69], v[124:125]
	v_fma_f64 v[189:190], v[116:117], v[68:69], -v[126:127]
	s_waitcnt vmcnt(1)
	v_mul_f64 v[120:121], v[114:115], v[66:67]
	v_mul_f64 v[116:117], v[112:113], v[66:67]
	v_fma_f64 v[124:125], v[84:85], v[60:61], -v[76:77]
	v_fma_f64 v[126:127], v[86:87], v[60:61], v[78:79]
	s_waitcnt vmcnt(0)
	v_mul_f64 v[84:85], v[82:83], v[74:75]
	v_mul_f64 v[86:87], v[80:81], v[74:75]
	global_load_dwordx4 v[76:79], v[141:142], off offset:304
	v_fma_f64 v[112:113], v[112:113], v[64:65], -v[120:121]
	v_fma_f64 v[114:115], v[114:115], v[64:65], v[116:117]
	v_add_f64 v[235:236], v[151:152], -v[2:3]
	v_add_f64 v[233:234], v[149:150], v[189:190]
	v_add_f64 v[243:244], v[149:150], -v[189:190]
	v_add_f64 v[241:242], v[151:152], v[2:3]
	v_fma_f64 v[120:121], v[80:81], v[72:73], -v[84:85]
	v_fma_f64 v[122:123], v[82:83], v[72:73], v[86:87]
	s_clause 0x1
	global_load_dwordx4 v[80:83], v[141:142], off offset:368
	global_load_dwordx4 v[84:87], v[141:142], off offset:352
	v_add_f64 v[175:176], v[124:125], v[112:113]
	v_add_f64 v[177:178], v[126:127], -v[114:115]
	v_mul_f64 v[237:238], v[235:236], s[18:19]
	v_add_f64 v[187:188], v[124:125], -v[112:113]
	v_mul_f64 v[239:240], v[243:244], s[18:19]
	v_add_f64 v[183:184], v[126:127], v[114:115]
	v_mul_f64 v[245:246], v[235:236], s[12:13]
	v_mul_f64 v[247:248], v[243:244], s[12:13]
	;; [unrolled: 1-line block ×10, first 2 shown]
	v_fma_f64 v[199:200], v[183:184], s[22:23], -v[231:232]
	s_waitcnt vmcnt(1)
	v_mul_f64 v[116:117], v[106:107], v[82:83]
	v_fma_f64 v[128:129], v[104:105], v[80:81], -v[116:117]
	v_mul_f64 v[104:105], v[104:105], v[82:83]
	v_add_f64 v[157:158], v[120:121], v[128:129]
	v_fma_f64 v[130:131], v[106:107], v[80:81], v[104:105]
	v_mul_f64 v[104:105], v[88:89], v[78:79]
	v_add_f64 v[181:182], v[120:121], -v[128:129]
	v_fma_f64 v[106:107], v[175:176], s[22:23], v[229:230]
	v_add_f64 v[159:160], v[122:123], -v[130:131]
	v_fma_f64 v[136:137], v[90:91], v[76:77], v[104:105]
	v_mul_f64 v[90:91], v[90:91], v[78:79]
	v_add_f64 v[169:170], v[122:123], v[130:131]
	v_mul_f64 v[207:208], v[181:182], s[16:17]
	v_mul_f64 v[227:228], v[181:182], s[30:31]
	;; [unrolled: 1-line block ×4, first 2 shown]
	v_fma_f64 v[138:139], v[88:89], v[76:77], -v[90:91]
	s_waitcnt vmcnt(0)
	v_mul_f64 v[88:89], v[92:93], v[86:87]
	v_mul_f64 v[219:220], v[159:160], s[30:31]
	v_fma_f64 v[132:133], v[94:95], v[84:85], v[88:89]
	v_mul_f64 v[88:89], v[94:95], v[86:87]
	v_add_f64 v[155:156], v[136:137], -v[132:133]
	v_fma_f64 v[134:135], v[92:93], v[84:85], -v[88:89]
	s_clause 0x1
	global_load_dwordx4 v[88:91], v[141:142], off offset:320
	global_load_dwordx4 v[92:95], v[141:142], off offset:336
	buffer_store_dword v4, off, s[40:43], 0 offset:48 ; 4-byte Folded Spill
	buffer_store_dword v5, off, s[40:43], 0 offset:52 ; 4-byte Folded Spill
	v_add_f64 v[165:166], v[136:137], v[132:133]
	v_mul_f64 v[211:212], v[155:156], s[28:29]
	v_add_f64 v[153:154], v[138:139], v[134:135]
	v_add_f64 v[167:168], v[138:139], -v[134:135]
	v_mul_f64 v[116:117], v[155:156], s[36:37]
	v_mul_f64 v[209:210], v[155:156], s[18:19]
	;; [unrolled: 1-line block ×5, first 2 shown]
	s_waitcnt vmcnt(1)
	v_mul_f64 v[104:105], v[102:103], v[90:91]
	v_fma_f64 v[145:146], v[100:101], v[88:89], -v[104:105]
	v_mul_f64 v[100:101], v[100:101], v[90:91]
	v_fma_f64 v[104:105], v[183:184], s[20:21], -v[221:222]
	v_fma_f64 v[147:148], v[102:103], v[88:89], v[100:101]
	s_waitcnt vmcnt(0)
	v_mul_f64 v[100:101], v[98:99], v[94:95]
	v_fma_f64 v[102:103], v[175:176], s[20:21], v[217:218]
	v_fma_f64 v[141:142], v[96:97], v[92:93], -v[100:101]
	v_mul_f64 v[96:97], v[96:97], v[94:95]
	v_fma_f64 v[100:101], v[183:184], s[2:3], -v[201:202]
	v_add_f64 v[161:162], v[145:146], v[141:142]
	v_fma_f64 v[143:144], v[98:99], v[92:93], v[96:97]
	v_fma_f64 v[96:97], v[233:234], s[6:7], v[237:238]
	;; [unrolled: 1-line block ×3, first 2 shown]
	v_add_f64 v[173:174], v[145:146], -v[141:142]
	v_add_f64 v[163:164], v[147:148], -v[143:144]
	v_add_f64 v[96:97], v[108:109], v[96:97]
	v_add_f64 v[171:172], v[147:148], v[143:144]
	v_mul_f64 v[225:226], v[173:174], s[24:25]
	v_mul_f64 v[10:11], v[173:174], s[28:29]
	;; [unrolled: 1-line block ×3, first 2 shown]
	v_add_f64 v[96:97], v[98:99], v[96:97]
	v_fma_f64 v[98:99], v[241:242], s[6:7], -v[239:240]
	v_mul_f64 v[6:7], v[163:164], s[34:35]
	v_mul_f64 v[8:9], v[163:164], s[28:29]
	v_fma_f64 v[118:119], v[171:172], s[20:21], -v[10:11]
	v_add_f64 v[98:99], v[110:111], v[98:99]
	v_fma_f64 v[205:206], v[161:162], s[20:21], v[8:9]
	v_add_f64 v[98:99], v[100:101], v[98:99]
	v_fma_f64 v[100:101], v[157:158], s[14:15], v[203:204]
	v_add_f64 v[96:97], v[100:101], v[96:97]
	v_fma_f64 v[100:101], v[169:170], s[14:15], -v[207:208]
	v_add_f64 v[98:99], v[100:101], v[98:99]
	v_fma_f64 v[100:101], v[153:154], s[20:21], v[211:212]
	v_add_f64 v[96:97], v[100:101], v[96:97]
	v_fma_f64 v[100:101], v[165:166], s[20:21], -v[215:216]
	;; [unrolled: 4-line block ×3, first 2 shown]
	v_add_f64 v[98:99], v[100:101], v[98:99]
	v_fma_f64 v[100:101], v[233:234], s[2:3], v[245:246]
	v_add_f64 v[100:101], v[108:109], v[100:101]
	v_add_f64 v[100:101], v[102:103], v[100:101]
	v_fma_f64 v[102:103], v[241:242], s[2:3], -v[247:248]
	v_add_f64 v[102:103], v[110:111], v[102:103]
	v_add_f64 v[102:103], v[104:105], v[102:103]
	v_fma_f64 v[104:105], v[157:158], s[22:23], v[4:5]
	v_mul_f64 v[4:5], v[181:182], s[26:27]
	buffer_store_dword v4, off, s[40:43], 0 offset:56 ; 4-byte Folded Spill
	buffer_store_dword v5, off, s[40:43], 0 offset:60 ; 4-byte Folded Spill
	v_add_f64 v[100:101], v[104:105], v[100:101]
	v_fma_f64 v[104:105], v[169:170], s[22:23], -v[4:5]
	v_mul_f64 v[4:5], v[173:174], s[34:35]
	v_add_f64 v[102:103], v[104:105], v[102:103]
	v_fma_f64 v[104:105], v[153:154], s[14:15], v[116:117]
	v_add_f64 v[100:101], v[104:105], v[100:101]
	v_fma_f64 v[104:105], v[165:166], s[14:15], -v[191:192]
	v_add_f64 v[102:103], v[104:105], v[102:103]
	v_fma_f64 v[104:105], v[161:162], s[6:7], v[6:7]
	v_add_f64 v[100:101], v[104:105], v[100:101]
	v_fma_f64 v[104:105], v[171:172], s[6:7], -v[4:5]
	v_add_f64 v[102:103], v[104:105], v[102:103]
	v_fma_f64 v[104:105], v[233:234], s[14:15], v[249:250]
	v_add_f64 v[104:105], v[108:109], v[104:105]
	v_add_f64 v[104:105], v[106:107], v[104:105]
	v_fma_f64 v[106:107], v[241:242], s[14:15], -v[251:252]
	v_add_f64 v[106:107], v[110:111], v[106:107]
	v_add_f64 v[106:107], v[199:200], v[106:107]
	v_fma_f64 v[199:200], v[157:158], s[2:3], v[219:220]
	v_add_f64 v[104:105], v[199:200], v[104:105]
	v_fma_f64 v[199:200], v[169:170], s[2:3], -v[227:228]
	v_add_f64 v[106:107], v[199:200], v[106:107]
	v_fma_f64 v[199:200], v[153:154], s[6:7], v[209:210]
	v_add_f64 v[104:105], v[199:200], v[104:105]
	v_fma_f64 v[199:200], v[165:166], s[6:7], -v[213:214]
	v_add_f64 v[104:105], v[205:206], v[104:105]
	v_add_f64 v[106:107], v[199:200], v[106:107]
	;; [unrolled: 1-line block ×3, first 2 shown]
	s_and_saveexec_b32 s1, s0
	s_cbranch_execz .LBB0_9
; %bb.8:
	buffer_store_dword v112, off, s[40:43], 0 offset:68 ; 4-byte Folded Spill
	buffer_store_dword v113, off, s[40:43], 0 offset:72 ; 4-byte Folded Spill
	;; [unrolled: 1-line block ×4, first 2 shown]
	v_mul_f64 v[118:119], v[241:242], s[22:23]
	v_mul_f64 v[114:115], v[241:242], s[20:21]
	s_mov_b32 s39, 0x3fe82f19
	s_mov_b32 s38, s28
	buffer_store_dword v116, off, s[40:43], 0 offset:84 ; 4-byte Folded Spill
	buffer_store_dword v117, off, s[40:43], 0 offset:88 ; 4-byte Folded Spill
	v_mov_b32_e32 v205, v186
	v_add_f64 v[149:150], v[108:109], v[149:150]
	v_add_f64 v[151:152], v[110:111], v[151:152]
	buffer_store_dword v1, off, s[40:43], 0 offset:64 ; 4-byte Folded Spill
	buffer_store_dword v2, off, s[40:43], 0 offset:100 ; 4-byte Folded Spill
	;; [unrolled: 1-line block ×7, first 2 shown]
	v_mov_b32_e32 v6, v191
	v_mov_b32_e32 v7, v192
	v_mov_b32_e32 v180, v193
	v_mov_b32_e32 v206, v194
	v_mov_b32_e32 v1, v196
	v_mov_b32_e32 v3, v0
	v_mov_b32_e32 v0, v195
	v_mov_b32_e32 v2, v197
	v_mul_f64 v[197:198], v[171:172], s[14:15]
	v_mul_f64 v[199:200], v[163:164], s[16:17]
	v_fma_f64 v[112:113], v[243:244], s[26:27], v[118:119]
	v_fma_f64 v[118:119], v[243:244], s[24:25], v[118:119]
	v_fma_f64 v[116:117], v[243:244], s[38:39], v[114:115]
	v_fma_f64 v[114:115], v[243:244], s[28:29], v[114:115]
	v_mul_f64 v[243:244], v[241:242], s[14:15]
	v_add_f64 v[124:125], v[149:150], v[124:125]
	v_add_f64 v[126:127], v[151:152], v[126:127]
	v_mul_f64 v[151:152], v[183:184], s[14:15]
	v_add_f64 v[112:113], v[110:111], v[112:113]
	v_add_f64 v[118:119], v[110:111], v[118:119]
	;; [unrolled: 1-line block ×5, first 2 shown]
	v_mul_f64 v[251:252], v[241:242], s[2:3]
	v_mul_f64 v[241:242], v[241:242], s[6:7]
	v_add_f64 v[122:123], v[126:127], v[122:123]
	v_mul_f64 v[126:127], v[169:170], s[2:3]
	v_add_f64 v[243:244], v[110:111], v[243:244]
	v_add_f64 v[247:248], v[247:248], v[251:252]
	;; [unrolled: 1-line block ×3, first 2 shown]
	v_mul_f64 v[241:242], v[233:234], s[6:7]
	v_add_f64 v[122:123], v[122:123], v[136:137]
	v_add_f64 v[126:127], v[227:228], v[126:127]
	;; [unrolled: 1-line block ×4, first 2 shown]
	v_add_f64 v[237:238], v[241:242], -v[237:238]
	v_mul_f64 v[241:242], v[233:234], s[2:3]
	v_add_f64 v[122:123], v[122:123], v[147:148]
	v_mul_f64 v[147:148], v[157:158], s[22:23]
	v_add_f64 v[237:238], v[108:109], v[237:238]
	v_add_f64 v[241:242], v[241:242], -v[245:246]
	v_mul_f64 v[245:246], v[233:234], s[14:15]
	v_add_f64 v[122:123], v[122:123], v[143:144]
	v_mul_f64 v[143:144], v[169:170], s[22:23]
	v_add_f64 v[241:242], v[108:109], v[241:242]
	v_add_f64 v[245:246], v[245:246], -v[249:250]
	v_mul_f64 v[249:250], v[235:236], s[24:25]
	v_mul_f64 v[235:236], v[235:236], s[28:29]
	v_add_f64 v[122:123], v[122:123], v[132:133]
	v_mul_f64 v[132:133], v[165:166], s[22:23]
	v_add_f64 v[245:246], v[108:109], v[245:246]
	v_fma_f64 v[251:252], v[233:234], s[22:23], v[249:250]
	v_fma_f64 v[249:250], v[233:234], s[22:23], -v[249:250]
	v_fma_f64 v[185:186], v[233:234], s[20:21], -v[235:236]
	v_fma_f64 v[233:234], v[233:234], s[20:21], v[235:236]
	v_add_f64 v[122:123], v[122:123], v[130:131]
	v_mul_f64 v[130:131], v[171:172], s[2:3]
	v_add_f64 v[235:236], v[108:109], v[251:252]
	v_mul_f64 v[251:252], v[183:184], s[6:7]
	v_add_f64 v[249:250], v[108:109], v[249:250]
	v_add_f64 v[185:186], v[108:109], v[185:186]
	;; [unrolled: 1-line block ×3, first 2 shown]
	v_fma_f64 v[108:109], v[187:188], s[18:19], v[251:252]
	v_fma_f64 v[149:150], v[187:188], s[34:35], v[251:252]
	v_add_f64 v[108:109], v[108:109], v[112:113]
	v_mul_f64 v[112:113], v[177:178], s[34:35]
	v_add_f64 v[118:119], v[149:150], v[118:119]
	v_mul_f64 v[177:178], v[177:178], s[36:37]
	v_fma_f64 v[110:111], v[175:176], s[6:7], v[112:113]
	v_fma_f64 v[112:113], v[175:176], s[6:7], -v[112:113]
	v_add_f64 v[110:111], v[110:111], v[235:236]
	v_mul_f64 v[235:236], v[169:170], s[20:21]
	v_add_f64 v[112:113], v[112:113], v[249:250]
	v_fma_f64 v[189:190], v[181:182], s[38:39], v[235:236]
	v_add_f64 v[108:109], v[189:190], v[108:109]
	v_mul_f64 v[189:190], v[159:160], s[28:29]
	v_mul_f64 v[159:160], v[159:160], s[18:19]
	v_fma_f64 v[191:192], v[157:158], s[20:21], v[189:190]
	v_add_f64 v[110:111], v[191:192], v[110:111]
	v_mul_f64 v[191:192], v[165:166], s[2:3]
	v_fma_f64 v[193:194], v[167:168], s[12:13], v[191:192]
	v_add_f64 v[108:109], v[193:194], v[108:109]
	;; [unrolled: 3-line block ×3, first 2 shown]
	v_fma_f64 v[110:111], v[173:174], s[36:37], v[197:198]
	v_add_f64 v[110:111], v[110:111], v[108:109]
	v_fma_f64 v[108:109], v[161:162], s[14:15], v[199:200]
	v_add_f64 v[108:109], v[108:109], v[195:196]
	v_mul_f64 v[195:196], v[183:184], s[2:3]
	v_add_f64 v[195:196], v[201:202], v[195:196]
	v_mul_f64 v[201:202], v[175:176], s[2:3]
	v_add_f64 v[149:150], v[195:196], v[239:240]
	v_add_f64 v[201:202], v[201:202], -v[1:2]
	v_mov_b32_e32 v1, v4
	v_mov_b32_e32 v2, v5
	v_mov_b32_e32 v4, v120
	v_mov_b32_e32 v5, v121
	v_mul_f64 v[120:121], v[169:170], s[14:15]
	v_add_f64 v[124:125], v[124:125], v[4:5]
	v_add_f64 v[195:196], v[201:202], v[237:238]
	;; [unrolled: 1-line block ×3, first 2 shown]
	v_mul_f64 v[207:208], v[157:158], s[14:15]
	v_add_f64 v[124:125], v[124:125], v[138:139]
	v_fma_f64 v[138:139], v[157:158], s[20:21], -v[189:190]
	v_add_f64 v[120:121], v[120:121], v[149:150]
	v_add_f64 v[203:204], v[207:208], -v[203:204]
	v_mul_f64 v[207:208], v[165:166], s[20:21]
	v_add_f64 v[124:125], v[124:125], v[145:146]
	v_add_f64 v[112:113], v[138:139], v[112:113]
	v_fma_f64 v[145:146], v[167:168], s[30:31], v[191:192]
	v_add_f64 v[138:139], v[203:204], v[195:196]
	v_mov_b32_e32 v195, v0
	v_mov_b32_e32 v0, v3
	s_clause 0x1
	buffer_load_dword v3, off, s[40:43], 0 offset:56
	buffer_load_dword v4, off, s[40:43], 0 offset:60
	v_add_f64 v[207:208], v[215:216], v[207:208]
	v_mul_f64 v[215:216], v[153:154], s[20:21]
	v_add_f64 v[124:125], v[124:125], v[141:142]
	v_mul_f64 v[141:142], v[157:158], s[2:3]
	v_add_f64 v[120:121], v[207:208], v[120:121]
	v_add_f64 v[211:212], v[215:216], -v[211:212]
	v_mul_f64 v[215:216], v[171:172], s[22:23]
	v_add_f64 v[124:125], v[124:125], v[134:135]
	v_fma_f64 v[134:135], v[167:168], s[26:27], v[132:133]
	v_fma_f64 v[132:133], v[167:168], s[24:25], v[132:133]
	v_add_f64 v[141:142], v[141:142], -v[219:220]
	v_mul_f64 v[167:168], v[165:166], s[6:7]
	v_mul_f64 v[165:166], v[165:166], s[14:15]
	v_add_f64 v[138:139], v[211:212], v[138:139]
	v_add_f64 v[215:216], v[225:226], v[215:216]
	v_mul_f64 v[225:226], v[161:162], s[22:23]
	v_add_f64 v[124:125], v[124:125], v[128:129]
	v_fma_f64 v[128:129], v[173:174], s[16:17], v[197:198]
	v_add_f64 v[167:168], v[213:214], v[167:168]
	v_add_f64 v[165:166], v[6:7], v[165:166]
	v_add_f64 v[223:224], v[225:226], -v[223:224]
	v_fma_f64 v[225:226], v[187:188], s[16:17], v[151:152]
	v_fma_f64 v[151:152], v[187:188], s[36:37], v[151:152]
	v_mul_f64 v[187:188], v[183:184], s[22:23]
	v_mul_f64 v[183:184], v[183:184], s[20:21]
	v_add_f64 v[116:117], v[225:226], v[116:117]
	v_add_f64 v[114:115], v[151:152], v[114:115]
	;; [unrolled: 1-line block ×3, first 2 shown]
	v_mul_f64 v[231:232], v[175:176], s[22:23]
	v_add_f64 v[183:184], v[221:222], v[183:184]
	v_mul_f64 v[221:222], v[175:176], s[20:21]
	v_add_f64 v[136:137], v[187:188], v[243:244]
	v_add_f64 v[229:230], v[231:232], -v[229:230]
	v_mul_f64 v[231:232], v[169:170], s[6:7]
	v_add_f64 v[217:218], v[221:222], -v[217:218]
	v_fma_f64 v[221:222], v[175:176], s[14:15], -v[177:178]
	v_fma_f64 v[175:176], v[175:176], s[14:15], v[177:178]
	v_fma_f64 v[177:178], v[181:182], s[28:29], v[235:236]
	v_add_f64 v[126:127], v[126:127], v[136:137]
	v_add_f64 v[151:152], v[229:230], v[245:246]
	v_fma_f64 v[235:236], v[181:182], s[34:35], v[231:232]
	v_fma_f64 v[181:182], v[181:182], s[18:19], v[231:232]
	v_add_f64 v[149:150], v[217:218], v[241:242]
	v_add_f64 v[169:170], v[221:222], v[185:186]
	;; [unrolled: 1-line block ×3, first 2 shown]
	v_fma_f64 v[177:178], v[157:158], s[6:7], -v[159:160]
	v_fma_f64 v[157:158], v[157:158], s[6:7], v[159:160]
	v_add_f64 v[159:160], v[175:176], v[233:234]
	v_mul_f64 v[136:137], v[153:154], s[6:7]
	v_mov_b32_e32 v186, v205
	v_add_f64 v[141:142], v[141:142], v[151:152]
	v_add_f64 v[116:117], v[235:236], v[116:117]
	;; [unrolled: 1-line block ×3, first 2 shown]
	v_mul_f64 v[151:152], v[155:156], s[24:25]
	v_add_f64 v[118:119], v[145:146], v[118:119]
	v_fma_f64 v[145:146], v[153:154], s[2:3], -v[193:194]
	v_mov_b32_e32 v193, v180
	v_mov_b32_e32 v194, v206
	v_add_f64 v[136:137], v[136:137], -v[209:210]
	v_add_f64 v[116:117], v[134:135], v[116:117]
	v_add_f64 v[132:133], v[132:133], v[114:115]
	v_mul_f64 v[114:115], v[171:172], s[20:21]
	v_fma_f64 v[155:156], v[153:154], s[22:23], -v[151:152]
	v_fma_f64 v[151:152], v[153:154], s[22:23], v[151:152]
	v_add_f64 v[112:113], v[145:146], v[112:113]
	v_add_f64 v[145:146], v[183:184], v[247:248]
	;; [unrolled: 1-line block ×4, first 2 shown]
	v_mul_f64 v[114:115], v[161:162], s[20:21]
	s_waitcnt vmcnt(0)
	v_add_f64 v[143:144], v[3:4], v[143:144]
	s_clause 0x1
	buffer_load_dword v3, off, s[40:43], 0 offset:48
	buffer_load_dword v4, off, s[40:43], 0 offset:52
	v_add_f64 v[143:144], v[143:144], v[145:146]
	v_mul_f64 v[145:146], v[153:154], s[14:15]
	v_add_f64 v[153:154], v[157:158], v[159:160]
	v_add_f64 v[159:160], v[167:168], v[126:127]
	v_add_f64 v[167:168], v[114:115], -v[8:9]
	v_mul_f64 v[114:115], v[171:172], s[6:7]
	v_fma_f64 v[157:158], v[173:174], s[12:13], v[130:131]
	v_fma_f64 v[130:131], v[173:174], s[30:31], v[130:131]
	v_fma_f64 v[126:127], v[161:162], s[14:15], -v[199:200]
	v_add_f64 v[143:144], v[165:166], v[143:144]
	v_add_f64 v[151:152], v[151:152], v[153:154]
	;; [unrolled: 1-line block ×5, first 2 shown]
	s_waitcnt vmcnt(0)
	v_add_f64 v[147:148], v[147:148], -v[3:4]
	s_clause 0x1
	buffer_load_dword v3, off, s[40:43], 0 offset:84
	buffer_load_dword v4, off, s[40:43], 0 offset:88
	v_add_f64 v[147:148], v[147:148], v[149:150]
	v_add_f64 v[149:150], v[177:178], v[169:170]
	;; [unrolled: 1-line block ×3, first 2 shown]
	s_clause 0x1
	buffer_load_dword v1, off, s[40:43], 0 offset:108
	buffer_load_dword v2, off, s[40:43], 0 offset:112
	v_mul_f64 v[114:115], v[161:162], s[6:7]
	v_add_f64 v[141:142], v[155:156], v[149:150]
	v_add_f64 v[134:135], v[169:170], v[143:144]
	s_waitcnt vmcnt(2)
	v_add_f64 v[145:146], v[145:146], -v[3:4]
	v_add_f64 v[145:146], v[145:146], v[147:148]
	s_waitcnt vmcnt(0)
	v_add_f64 v[165:166], v[114:115], -v[1:2]
	s_clause 0x1
	buffer_load_dword v1, off, s[40:43], 0 offset:76
	buffer_load_dword v2, off, s[40:43], 0 offset:80
	v_mul_f64 v[114:115], v[163:164], s[30:31]
	v_add_f64 v[132:133], v[165:166], v[145:146]
	v_fma_f64 v[147:148], v[161:162], s[2:3], -v[114:115]
	v_fma_f64 v[149:150], v[161:162], s[2:3], v[114:115]
	v_add_f64 v[114:115], v[128:129], v[118:119]
	v_add_f64 v[128:129], v[167:168], v[136:137]
	v_add_f64 v[136:137], v[149:150], v[151:152]
	s_waitcnt vmcnt(0)
	v_add_f64 v[153:154], v[122:123], v[1:2]
	s_clause 0x1
	buffer_load_dword v1, off, s[40:43], 0 offset:68
	buffer_load_dword v2, off, s[40:43], 0 offset:72
	v_add_f64 v[122:123], v[215:216], v[120:121]
	v_add_f64 v[120:121], v[223:224], v[138:139]
	;; [unrolled: 1-line block ×3, first 2 shown]
	s_waitcnt vmcnt(0)
	v_add_f64 v[155:156], v[124:125], v[1:2]
	s_clause 0x1
	buffer_load_dword v1, off, s[40:43], 0 offset:100
	buffer_load_dword v2, off, s[40:43], 0 offset:104
	v_add_f64 v[124:125], v[147:148], v[141:142]
	v_lshl_add_u32 v141, v193, 4, v253
	s_waitcnt vmcnt(0)
	v_add_f64 v[118:119], v[153:154], v[1:2]
	s_clause 0x1
	buffer_load_dword v1, off, s[40:43], 0 offset:92
	buffer_load_dword v2, off, s[40:43], 0 offset:96
	s_waitcnt vmcnt(0)
	v_add_f64 v[116:117], v[155:156], v[1:2]
	buffer_load_dword v1, off, s[40:43], 0 offset:64 ; 4-byte Folded Reload
	ds_write_b128 v141, v[120:123] offset:384
	ds_write_b128 v141, v[132:135] offset:768
	;; [unrolled: 1-line block ×7, first 2 shown]
	ds_write_b128 v254, v[116:119]
	ds_write_b128 v141, v[104:107] offset:3072
	ds_write_b128 v141, v[100:103] offset:3456
	;; [unrolled: 1-line block ×3, first 2 shown]
.LBB0_9:
	s_or_b32 exec_lo, exec_lo, s1
	v_add_co_u32 v108, s1, 0x1000, v186
	v_add_co_ci_u32_e64 v109, s1, 0, v255, s1
	v_add_co_u32 v120, s1, 0x1080, v186
	v_add_co_ci_u32_e64 v121, s1, 0, v255, s1
	s_waitcnt vmcnt(0) lgkmcnt(0)
	s_waitcnt_vscnt null, 0x0
	s_barrier
	buffer_gl0_inv
	s_clause 0x1
	global_load_dwordx4 v[108:111], v[108:109], off offset:128
	global_load_dwordx4 v[112:115], v[120:121], off offset:528
	v_add_co_u32 v136, s1, 0x1800, v186
	v_add_co_ci_u32_e64 v137, s1, 0, v255, s1
	s_clause 0x5
	global_load_dwordx4 v[116:119], v[120:121], off offset:1056
	global_load_dwordx4 v[120:123], v[120:121], off offset:1584
	;; [unrolled: 1-line block ×6, first 2 shown]
	v_lshl_add_u32 v141, v193, 4, v253
	ds_read_b128 v[142:145], v254
	ds_read_b128 v[146:149], v254 offset:528
	ds_read_b128 v[150:153], v141 offset:1056
	;; [unrolled: 1-line block ×7, first 2 shown]
	s_mov_b32 s2, 0x667f3bcd
	s_mov_b32 s3, 0xbfe6a09e
	;; [unrolled: 1-line block ×4, first 2 shown]
	s_waitcnt vmcnt(7) lgkmcnt(7)
	v_mul_f64 v[174:175], v[144:145], v[110:111]
	v_mul_f64 v[110:111], v[142:143], v[110:111]
	s_waitcnt vmcnt(6) lgkmcnt(6)
	v_mul_f64 v[176:177], v[148:149], v[114:115]
	v_mul_f64 v[114:115], v[146:147], v[114:115]
	;; [unrolled: 3-line block ×8, first 2 shown]
	v_fma_f64 v[142:143], v[142:143], v[108:109], -v[174:175]
	v_fma_f64 v[144:145], v[144:145], v[108:109], v[110:111]
	v_fma_f64 v[108:109], v[146:147], v[112:113], -v[176:177]
	v_fma_f64 v[110:111], v[148:149], v[112:113], v[114:115]
	;; [unrolled: 2-line block ×8, first 2 shown]
	ds_write_b128 v254, v[142:145]
	ds_write_b128 v254, v[108:111] offset:528
	ds_write_b128 v141, v[112:115] offset:1056
	;; [unrolled: 1-line block ×7, first 2 shown]
	s_waitcnt lgkmcnt(0)
	s_barrier
	buffer_gl0_inv
	ds_read_b128 v[108:111], v254
	ds_read_b128 v[112:115], v254 offset:2112
	ds_read_b128 v[116:119], v141 offset:1056
	;; [unrolled: 1-line block ×7, first 2 shown]
	s_waitcnt lgkmcnt(0)
	s_barrier
	buffer_gl0_inv
	v_add_f64 v[112:113], v[108:109], -v[112:113]
	v_add_f64 v[114:115], v[110:111], -v[114:115]
	;; [unrolled: 1-line block ×8, first 2 shown]
	v_fma_f64 v[108:109], v[108:109], 2.0, -v[112:113]
	v_fma_f64 v[110:111], v[110:111], 2.0, -v[114:115]
	;; [unrolled: 1-line block ×6, first 2 shown]
	v_add_f64 v[142:143], v[112:113], v[122:123]
	v_add_f64 v[144:145], v[114:115], -v[120:121]
	v_fma_f64 v[120:121], v[132:133], 2.0, -v[136:137]
	v_fma_f64 v[122:123], v[134:135], 2.0, -v[138:139]
	v_add_f64 v[132:133], v[124:125], v[138:139]
	v_add_f64 v[134:135], v[126:127], -v[136:137]
	v_add_f64 v[136:137], v[108:109], -v[116:117]
	v_add_f64 v[138:139], v[110:111], -v[118:119]
	v_fma_f64 v[146:147], v[112:113], 2.0, -v[142:143]
	v_fma_f64 v[148:149], v[114:115], 2.0, -v[144:145]
	v_add_f64 v[112:113], v[128:129], -v[120:121]
	v_add_f64 v[114:115], v[130:131], -v[122:123]
	v_fma_f64 v[118:119], v[124:125], 2.0, -v[132:133]
	v_fma_f64 v[116:117], v[126:127], 2.0, -v[134:135]
	v_fma_f64 v[120:121], v[132:133], s[6:7], v[142:143]
	v_fma_f64 v[122:123], v[134:135], s[6:7], v[144:145]
	v_fma_f64 v[150:151], v[108:109], 2.0, -v[136:137]
	v_fma_f64 v[152:153], v[110:111], 2.0, -v[138:139]
	;; [unrolled: 1-line block ×4, first 2 shown]
	v_fma_f64 v[128:129], v[118:119], s[2:3], v[146:147]
	v_fma_f64 v[130:131], v[116:117], s[2:3], v[148:149]
	v_add_f64 v[108:109], v[136:137], v[114:115]
	v_add_f64 v[110:111], v[138:139], -v[112:113]
	v_fma_f64 v[120:121], v[134:135], s[6:7], v[120:121]
	v_fma_f64 v[122:123], v[132:133], s[2:3], v[122:123]
	v_add_f64 v[112:113], v[150:151], -v[124:125]
	v_add_f64 v[114:115], v[152:153], -v[126:127]
	v_fma_f64 v[116:117], v[116:117], s[6:7], v[128:129]
	v_fma_f64 v[118:119], v[118:119], s[2:3], v[130:131]
	v_fma_f64 v[124:125], v[136:137], 2.0, -v[108:109]
	v_fma_f64 v[126:127], v[138:139], 2.0, -v[110:111]
	;; [unrolled: 1-line block ×8, first 2 shown]
	ds_write_b128 v179, v[108:111] offset:96
	ds_write_b128 v179, v[120:123] offset:112
	ds_write_b128 v179, v[124:127] offset:32
	ds_write_b128 v179, v[128:131] offset:48
	ds_write_b128 v179, v[112:115] offset:64
	ds_write_b128 v179, v[116:119] offset:80
	ds_write_b128 v179, v[132:135]
	ds_write_b128 v179, v[136:139] offset:16
	s_waitcnt lgkmcnt(0)
	s_barrier
	buffer_gl0_inv
	ds_read_b128 v[116:119], v254
	ds_read_b128 v[112:115], v254 offset:528
	ds_read_b128 v[132:135], v254 offset:1408
	;; [unrolled: 1-line block ×5, first 2 shown]
	s_and_saveexec_b32 s1, vcc_lo
	s_cbranch_execz .LBB0_11
; %bb.10:
	ds_read_b128 v[108:111], v141 offset:1056
	ds_read_b128 v[120:123], v254 offset:2464
	ds_read_b128 v[104:107], v254 offset:3872
.LBB0_11:
	s_or_b32 exec_lo, exec_lo, s1
	s_waitcnt lgkmcnt(3)
	v_mul_f64 v[142:143], v[50:51], v[134:135]
	s_waitcnt lgkmcnt(1)
	v_mul_f64 v[144:145], v[46:47], v[138:139]
	v_mul_f64 v[50:51], v[50:51], v[132:133]
	;; [unrolled: 1-line block ×4, first 2 shown]
	s_waitcnt lgkmcnt(0)
	v_mul_f64 v[148:149], v[38:39], v[130:131]
	v_mul_f64 v[42:43], v[42:43], v[124:125]
	;; [unrolled: 1-line block ×7, first 2 shown]
	s_mov_b32 s2, 0xe8584caa
	s_mov_b32 s3, 0xbfebb67a
	;; [unrolled: 1-line block ×4, first 2 shown]
	s_barrier
	buffer_gl0_inv
	v_fma_f64 v[132:133], v[48:49], v[132:133], v[142:143]
	v_fma_f64 v[136:137], v[44:45], v[136:137], v[144:145]
	v_fma_f64 v[48:49], v[48:49], v[134:135], -v[50:51]
	v_fma_f64 v[44:45], v[44:45], v[138:139], -v[46:47]
	v_fma_f64 v[46:47], v[40:41], v[124:125], v[146:147]
	v_fma_f64 v[50:51], v[36:37], v[128:129], v[148:149]
	v_fma_f64 v[40:41], v[40:41], v[126:127], -v[42:43]
	v_fma_f64 v[42:43], v[36:37], v[130:131], -v[38:39]
	;; [unrolled: 4-line block ×3, first 2 shown]
	v_add_f64 v[124:125], v[116:117], v[132:133]
	v_add_f64 v[54:55], v[132:133], v[136:137]
	;; [unrolled: 1-line block ×3, first 2 shown]
	v_add_f64 v[126:127], v[48:49], -v[44:45]
	v_add_f64 v[58:59], v[46:47], v[50:51]
	v_add_f64 v[48:49], v[118:119], v[48:49]
	;; [unrolled: 1-line block ×9, first 2 shown]
	v_add_f64 v[142:143], v[46:47], -v[50:51]
	v_add_f64 v[144:145], v[38:39], -v[52:53]
	v_add_f64 v[146:147], v[36:37], -v[104:105]
	v_add_f64 v[36:37], v[124:125], v[136:137]
	v_fma_f64 v[54:55], v[54:55], -0.5, v[116:117]
	v_add_f64 v[116:117], v[132:133], -v[136:137]
	v_fma_f64 v[118:119], v[56:57], -0.5, v[118:119]
	v_add_f64 v[132:133], v[40:41], -v[42:43]
	v_fma_f64 v[112:113], v[58:59], -0.5, v[112:113]
	v_add_f64 v[38:39], v[48:49], v[44:45]
	v_fma_f64 v[114:115], v[106:107], -0.5, v[114:115]
	v_add_f64 v[40:41], v[128:129], v[50:51]
	;; [unrolled: 2-line block ×4, first 2 shown]
	v_add_f64 v[58:59], v[52:53], v[138:139]
	v_fma_f64 v[104:105], v[126:127], s[2:3], v[54:55]
	v_fma_f64 v[52:53], v[126:127], s[6:7], v[54:55]
	;; [unrolled: 1-line block ×12, first 2 shown]
	ds_write_b128 v0, v[36:39]
	ds_write_b128 v0, v[104:107] offset:128
	ds_write_b128 v0, v[52:55] offset:256
	ds_write_b128 v1, v[40:43]
	ds_write_b128 v1, v[44:47] offset:128
	ds_write_b128 v1, v[48:51] offset:256
	s_and_saveexec_b32 s1, vcc_lo
	s_cbranch_execz .LBB0_13
; %bb.12:
	v_mul_u32_u24_e32 v116, 24, v195
	v_or_b32_e32 v116, v116, v194
	v_lshl_add_u32 v116, v116, 4, v253
	ds_write_b128 v116, v[56:59]
	ds_write_b128 v116, v[108:111] offset:128
	ds_write_b128 v116, v[112:115] offset:256
.LBB0_13:
	s_or_b32 exec_lo, exec_lo, s1
	s_waitcnt lgkmcnt(0)
	s_barrier
	buffer_gl0_inv
	s_and_saveexec_b32 s1, s0
	s_cbranch_execz .LBB0_15
; %bb.14:
	ds_read_b128 v[36:39], v254
	ds_read_b128 v[104:107], v254 offset:384
	ds_read_b128 v[52:55], v254 offset:768
	;; [unrolled: 1-line block ×10, first 2 shown]
.LBB0_15:
	s_or_b32 exec_lo, exec_lo, s1
	s_and_saveexec_b32 s33, s0
	s_cbranch_execz .LBB0_17
; %bb.16:
	s_waitcnt lgkmcnt(9)
	v_mul_f64 v[116:117], v[34:35], v[106:107]
	s_waitcnt lgkmcnt(0)
	v_mul_f64 v[118:119], v[70:71], v[98:99]
	v_mul_f64 v[120:121], v[34:35], v[104:105]
	;; [unrolled: 1-line block ×9, first 2 shown]
	s_mov_b32 s22, 0xfd768dbf
	s_mov_b32 s23, 0xbfd207e7
	v_mul_f64 v[122:123], v[90:91], v[50:51]
	v_mul_f64 v[124:125], v[94:95], v[58:59]
	;; [unrolled: 1-line block ×4, first 2 shown]
	s_mov_b32 s14, 0xbb3a28a1
	s_mov_b32 s12, 0xf8bb580b
	;; [unrolled: 1-line block ×6, first 2 shown]
	v_fma_f64 v[104:105], v[32:33], v[104:105], v[116:117]
	v_fma_f64 v[34:35], v[68:69], v[96:97], v[118:119]
	v_fma_f64 v[96:97], v[32:33], v[106:107], -v[120:121]
	v_fma_f64 v[32:33], v[68:69], v[98:99], -v[70:71]
	v_mul_f64 v[68:69], v[78:79], v[44:45]
	v_mul_f64 v[70:71], v[86:87], v[108:109]
	v_mul_f64 v[78:79], v[74:75], v[42:43]
	v_mul_f64 v[86:87], v[82:83], v[114:115]
	v_mul_f64 v[74:75], v[74:75], v[40:41]
	v_mul_f64 v[82:83], v[82:83], v[112:113]
	v_fma_f64 v[98:99], v[60:61], v[52:53], v[130:131]
	v_fma_f64 v[52:53], v[64:65], v[100:101], v[132:133]
	v_fma_f64 v[60:61], v[60:61], v[54:55], -v[62:63]
	v_fma_f64 v[54:55], v[64:65], v[102:103], -v[66:67]
	v_fma_f64 v[44:45], v[76:77], v[44:45], v[126:127]
	v_fma_f64 v[66:67], v[84:85], v[108:109], v[128:129]
	;; [unrolled: 1-line block ×3, first 2 shown]
	v_fma_f64 v[50:51], v[88:89], v[50:51], -v[90:91]
	v_fma_f64 v[58:59], v[92:93], v[58:59], -v[94:95]
	s_mov_b32 s2, 0x7f775887
	s_mov_b32 s6, 0x8764f0ba
	;; [unrolled: 1-line block ×4, first 2 shown]
	v_add_f64 v[62:63], v[104:105], -v[34:35]
	s_mov_b32 s27, 0x3fefac9e
	v_add_f64 v[64:65], v[96:97], -v[32:33]
	v_fma_f64 v[46:47], v[76:77], v[46:47], -v[68:69]
	v_fma_f64 v[70:71], v[84:85], v[110:111], -v[70:71]
	v_fma_f64 v[68:69], v[72:73], v[40:41], v[78:79]
	v_fma_f64 v[40:41], v[80:81], v[112:113], v[86:87]
	v_fma_f64 v[72:73], v[72:73], v[42:43], -v[74:75]
	v_fma_f64 v[42:43], v[80:81], v[114:115], -v[82:83]
	v_add_f64 v[78:79], v[32:33], v[96:97]
	v_add_f64 v[74:75], v[98:99], -v[52:53]
	v_add_f64 v[80:81], v[34:35], v[104:105]
	v_add_f64 v[76:77], v[60:61], -v[54:55]
	v_add_f64 v[92:93], v[60:61], v[54:55]
	v_add_f64 v[106:107], v[98:99], v[52:53]
	s_mov_b32 s26, s16
	v_fma_f64 v[48:49], v[88:89], v[48:49], v[122:123]
	v_add_f64 v[88:89], v[44:45], -v[66:67]
	s_mov_b32 s0, 0x640f44db
	s_mov_b32 s1, 0xbfc2375f
	;; [unrolled: 1-line block ×4, first 2 shown]
	v_mul_f64 v[82:83], v[62:63], s[22:23]
	v_mul_f64 v[128:129], v[62:63], s[14:15]
	;; [unrolled: 1-line block ×4, first 2 shown]
	v_add_f64 v[100:101], v[46:47], -v[70:71]
	v_mul_f64 v[156:157], v[62:63], s[16:17]
	v_add_f64 v[90:91], v[68:69], -v[40:41]
	v_add_f64 v[126:127], v[40:41], v[68:69]
	v_add_f64 v[102:103], v[72:73], -v[42:43]
	v_add_f64 v[120:121], v[42:43], v[72:73]
	v_mul_f64 v[108:109], v[74:75], s[12:13]
	v_mul_f64 v[158:159], v[74:75], s[26:27]
	;; [unrolled: 1-line block ×4, first 2 shown]
	s_mov_b32 s29, 0xbfe14ced
	s_mov_b32 s31, 0x3fd207e7
	;; [unrolled: 1-line block ×4, first 2 shown]
	v_add_f64 v[96:97], v[38:39], v[96:97]
	v_add_f64 v[104:105], v[36:37], v[104:105]
	;; [unrolled: 1-line block ×4, first 2 shown]
	v_fma_f64 v[116:117], v[78:79], s[18:19], v[82:83]
	v_fma_f64 v[82:83], v[78:79], s[18:19], -v[82:83]
	v_fma_f64 v[118:119], v[80:81], s[18:19], -v[84:85]
	v_fma_f64 v[84:85], v[80:81], s[18:19], v[84:85]
	v_fma_f64 v[160:161], v[78:79], s[2:3], v[128:129]
	v_mul_f64 v[132:133], v[88:89], s[24:25]
	v_mul_f64 v[134:135], v[90:91], s[14:15]
	;; [unrolled: 1-line block ×5, first 2 shown]
	v_fma_f64 v[146:147], v[92:93], s[6:7], v[108:109]
	v_fma_f64 v[108:109], v[92:93], s[6:7], -v[108:109]
	v_fma_f64 v[148:149], v[106:107], s[6:7], -v[110:111]
	v_fma_f64 v[110:111], v[106:107], s[6:7], v[110:111]
	v_mul_f64 v[166:167], v[76:77], s[26:27]
	v_fma_f64 v[174:175], v[80:81], s[2:3], -v[142:143]
	v_fma_f64 v[128:129], v[78:79], s[2:3], -v[128:129]
	v_fma_f64 v[142:143], v[80:81], s[2:3], v[142:143]
	v_fma_f64 v[178:179], v[92:93], s[0:1], v[158:159]
	v_fma_f64 v[182:183], v[80:81], s[0:1], -v[168:169]
	s_mov_b32 s20, 0xd9c712b6
	s_mov_b32 s21, 0x3fda9628
	v_add_f64 v[116:117], v[38:39], v[116:117]
	v_add_f64 v[82:83], v[38:39], v[82:83]
	;; [unrolled: 1-line block ×6, first 2 shown]
	v_fma_f64 v[172:173], v[120:121], s[2:3], v[134:135]
	v_fma_f64 v[134:135], v[120:121], s[2:3], -v[134:135]
	v_fma_f64 v[176:177], v[126:127], s[2:3], -v[144:145]
	v_fma_f64 v[144:145], v[126:127], s[2:3], v[144:145]
	v_add_f64 v[98:99], v[98:99], v[104:105]
	v_mul_f64 v[152:153], v[88:89], s[22:23]
	v_mul_f64 v[164:165], v[102:103], s[28:29]
	;; [unrolled: 1-line block ×3, first 2 shown]
	v_fma_f64 v[96:97], v[114:115], s[20:21], v[132:133]
	v_fma_f64 v[180:181], v[124:125], s[20:21], -v[138:139]
	v_fma_f64 v[132:133], v[114:115], s[20:21], -v[132:133]
	;; [unrolled: 1-line block ×3, first 2 shown]
	v_fma_f64 v[138:139], v[124:125], s[20:21], v[138:139]
	v_fma_f64 v[158:159], v[92:93], s[0:1], -v[158:159]
	v_fma_f64 v[166:167], v[106:107], s[0:1], v[166:167]
	v_add_f64 v[128:129], v[38:39], v[128:129]
	v_add_f64 v[116:117], v[146:147], v[116:117]
	;; [unrolled: 1-line block ×5, first 2 shown]
	v_mul_f64 v[108:109], v[74:75], s[30:31]
	v_mul_f64 v[146:147], v[76:77], s[30:31]
	v_fma_f64 v[148:149], v[78:79], s[0:1], v[156:157]
	v_mul_f64 v[110:111], v[102:103], s[24:25]
	v_add_f64 v[142:143], v[36:37], v[142:143]
	v_add_f64 v[160:161], v[178:179], v[160:161]
	;; [unrolled: 1-line block ×3, first 2 shown]
	v_add_f64 v[86:87], v[48:49], -v[56:57]
	v_add_f64 v[94:95], v[50:51], -v[58:59]
	v_add_f64 v[60:61], v[72:73], v[60:61]
	v_add_f64 v[68:69], v[68:69], v[98:99]
	v_mul_f64 v[162:163], v[100:101], s[22:23]
	v_add_f64 v[174:175], v[36:37], v[174:175]
	v_fma_f64 v[182:183], v[126:127], s[6:7], -v[164:165]
	v_fma_f64 v[164:165], v[126:127], s[6:7], v[164:165]
	v_fma_f64 v[156:157], v[78:79], s[0:1], -v[156:157]
	v_fma_f64 v[72:73], v[114:115], s[18:19], -v[152:153]
	v_add_f64 v[128:129], v[158:159], v[128:129]
	v_add_f64 v[116:117], v[172:173], v[116:117]
	;; [unrolled: 1-line block ×5, first 2 shown]
	v_fma_f64 v[134:135], v[92:93], s[18:19], v[108:109]
	v_fma_f64 v[176:177], v[106:107], s[18:19], -v[146:147]
	v_add_f64 v[144:145], v[38:39], v[148:149]
	v_fma_f64 v[148:149], v[120:121], s[6:7], v[154:155]
	v_fma_f64 v[154:155], v[120:121], s[6:7], -v[154:155]
	v_add_f64 v[142:143], v[166:167], v[142:143]
	v_fma_f64 v[166:167], v[126:127], s[20:21], -v[110:111]
	v_mul_f64 v[150:151], v[86:87], s[24:25]
	v_fma_f64 v[108:109], v[92:93], s[18:19], -v[108:109]
	v_add_f64 v[46:47], v[46:47], v[60:61]
	v_add_f64 v[44:45], v[44:45], v[68:69]
	v_fma_f64 v[146:147], v[106:107], s[18:19], v[146:147]
	v_add_f64 v[174:175], v[184:185], v[174:175]
	v_mul_f64 v[60:61], v[64:65], s[28:29]
	v_add_f64 v[112:113], v[50:51], v[58:59]
	v_add_f64 v[122:123], v[48:49], v[56:57]
	v_fma_f64 v[110:111], v[126:127], s[20:21], v[110:111]
	v_mul_f64 v[130:131], v[86:87], s[16:17]
	v_add_f64 v[96:97], v[96:97], v[116:117]
	v_add_f64 v[82:83], v[132:133], v[82:83]
	;; [unrolled: 1-line block ×4, first 2 shown]
	v_mul_f64 v[118:119], v[88:89], s[28:29]
	v_fma_f64 v[132:133], v[80:81], s[0:1], v[168:169]
	v_fma_f64 v[138:139], v[120:121], s[20:21], v[170:171]
	v_add_f64 v[134:135], v[134:135], v[144:145]
	v_fma_f64 v[144:145], v[114:115], s[18:19], v[152:153]
	v_add_f64 v[148:149], v[148:149], v[160:161]
	v_mul_f64 v[160:161], v[100:101], s[28:29]
	v_add_f64 v[168:169], v[176:177], v[178:179]
	v_mul_f64 v[176:177], v[94:95], s[24:25]
	s_mov_b32 s25, 0xbfed1bb4
	v_fma_f64 v[178:179], v[124:125], s[18:19], -v[162:163]
	v_add_f64 v[98:99], v[154:155], v[128:129]
	v_fma_f64 v[128:129], v[124:125], s[18:19], v[162:163]
	v_add_f64 v[152:153], v[38:39], v[156:157]
	v_add_f64 v[142:143], v[164:165], v[142:143]
	v_mul_f64 v[64:65], v[64:65], s[24:25]
	v_add_f64 v[46:47], v[50:51], v[46:47]
	v_add_f64 v[44:45], v[48:49], v[44:45]
	;; [unrolled: 1-line block ×3, first 2 shown]
	v_fma_f64 v[48:49], v[80:81], s[6:7], v[60:61]
	v_fma_f64 v[158:159], v[112:113], s[20:21], v[150:151]
	v_fma_f64 v[68:69], v[112:113], s[20:21], -v[150:151]
	v_fma_f64 v[156:157], v[114:115], s[6:7], v[118:119]
	v_add_f64 v[132:133], v[36:37], v[132:133]
	v_fma_f64 v[150:151], v[120:121], s[20:21], -v[170:171]
	v_add_f64 v[134:135], v[138:139], v[134:135]
	v_fma_f64 v[60:61], v[80:81], s[6:7], -v[60:61]
	v_add_f64 v[138:139], v[144:145], v[148:149]
	v_mul_f64 v[144:145], v[62:63], s[24:25]
	v_fma_f64 v[162:163], v[124:125], s[6:7], -v[160:161]
	v_add_f64 v[164:165], v[166:167], v[168:169]
	v_mul_f64 v[62:63], v[62:63], s[28:29]
	v_fma_f64 v[166:167], v[122:123], s[20:21], -v[176:177]
	v_add_f64 v[72:73], v[72:73], v[98:99]
	v_fma_f64 v[98:99], v[122:123], s[20:21], v[176:177]
	v_add_f64 v[108:109], v[108:109], v[152:153]
	v_mul_f64 v[154:155], v[86:87], s[14:15]
	v_fma_f64 v[50:51], v[80:81], s[20:21], v[64:65]
	v_fma_f64 v[64:65], v[80:81], s[20:21], -v[64:65]
	v_add_f64 v[46:47], v[58:59], v[46:47]
	v_add_f64 v[44:45], v[56:57], v[44:45]
	;; [unrolled: 1-line block ×3, first 2 shown]
	v_mul_f64 v[80:81], v[90:91], s[30:31]
	v_mul_f64 v[90:91], v[90:91], s[16:17]
	v_add_f64 v[48:49], v[36:37], v[48:49]
	v_add_f64 v[132:133], v[146:147], v[132:133]
	v_mul_f64 v[146:147], v[74:75], s[14:15]
	v_add_f64 v[134:135], v[156:157], v[134:135]
	v_mul_f64 v[156:157], v[76:77], s[14:15]
	v_mul_f64 v[74:75], v[74:75], s[24:25]
	v_fma_f64 v[152:153], v[78:79], s[20:21], -v[144:145]
	v_mul_f64 v[76:77], v[76:77], s[24:25]
	v_add_f64 v[162:163], v[162:163], v[164:165]
	v_fma_f64 v[164:165], v[78:79], s[6:7], -v[62:63]
	v_fma_f64 v[144:145], v[78:79], s[20:21], v[144:145]
	v_fma_f64 v[62:63], v[78:79], s[6:7], v[62:63]
	v_fma_f64 v[118:119], v[114:115], s[6:7], -v[118:119]
	v_add_f64 v[108:109], v[150:151], v[108:109]
	v_fma_f64 v[150:151], v[124:125], s[6:7], v[160:161]
	v_add_f64 v[50:51], v[36:37], v[50:51]
	v_add_f64 v[64:65], v[36:37], v[64:65]
	;; [unrolled: 1-line block ×5, first 2 shown]
	v_mul_f64 v[60:61], v[88:89], s[26:27]
	v_mul_f64 v[88:89], v[88:89], s[14:15]
	v_fma_f64 v[66:67], v[120:121], s[18:19], v[80:81]
	v_add_f64 v[78:79], v[110:111], v[132:133]
	v_mul_f64 v[110:111], v[102:103], s[30:31]
	v_fma_f64 v[132:133], v[92:93], s[2:3], -v[146:147]
	v_mul_f64 v[102:103], v[102:103], s[16:17]
	v_fma_f64 v[174:175], v[92:93], s[20:21], -v[74:75]
	v_add_f64 v[152:153], v[38:39], v[152:153]
	v_fma_f64 v[176:177], v[106:107], s[20:21], v[76:77]
	v_fma_f64 v[160:161], v[106:107], s[2:3], v[156:157]
	v_add_f64 v[164:165], v[38:39], v[164:165]
	v_fma_f64 v[56:57], v[92:93], s[2:3], v[146:147]
	v_add_f64 v[58:59], v[38:39], v[144:145]
	v_fma_f64 v[144:145], v[106:107], s[2:3], -v[156:157]
	v_fma_f64 v[74:75], v[92:93], s[20:21], v[74:75]
	v_add_f64 v[38:39], v[38:39], v[62:63]
	v_fma_f64 v[62:63], v[106:107], s[20:21], -v[76:77]
	v_mul_f64 v[76:77], v[100:101], s[26:27]
	v_fma_f64 v[92:93], v[120:121], s[18:19], -v[80:81]
	v_mul_f64 v[100:101], v[100:101], s[14:15]
	v_fma_f64 v[146:147], v[120:121], s[0:1], -v[90:91]
	v_fma_f64 v[70:71], v[120:121], s[0:1], v[90:91]
	v_add_f64 v[42:43], v[42:43], v[46:47]
	v_add_f64 v[40:41], v[40:41], v[44:45]
	v_mul_f64 v[136:137], v[94:95], s[16:17]
	v_mul_f64 v[148:149], v[94:95], s[14:15]
	;; [unrolled: 1-line block ×3, first 2 shown]
	v_fma_f64 v[156:157], v[126:127], s[0:1], v[102:103]
	v_fma_f64 v[90:91], v[114:115], s[0:1], -v[60:61]
	v_add_f64 v[106:107], v[132:133], v[152:153]
	v_add_f64 v[48:49], v[176:177], v[48:49]
	v_fma_f64 v[132:133], v[126:127], s[18:19], v[110:111]
	v_add_f64 v[152:153], v[174:175], v[164:165]
	v_add_f64 v[50:51], v[160:161], v[50:51]
	;; [unrolled: 1-line block ×3, first 2 shown]
	v_fma_f64 v[58:59], v[126:127], s[18:19], -v[110:111]
	v_add_f64 v[64:65], v[144:145], v[64:65]
	v_add_f64 v[38:39], v[74:75], v[38:39]
	v_fma_f64 v[74:75], v[126:127], s[0:1], -v[102:103]
	v_add_f64 v[36:37], v[62:63], v[36:37]
	v_mul_f64 v[62:63], v[86:87], s[12:13]
	v_mul_f64 v[86:87], v[86:87], s[22:23]
	;; [unrolled: 1-line block ×3, first 2 shown]
	v_fma_f64 v[120:121], v[124:125], s[2:3], v[100:101]
	v_fma_f64 v[102:103], v[124:125], s[0:1], v[76:77]
	v_add_f64 v[52:53], v[52:53], v[40:41]
	v_add_f64 v[128:129], v[128:129], v[142:143]
	v_fma_f64 v[104:105], v[112:113], s[0:1], v[130:131]
	v_fma_f64 v[172:173], v[122:123], s[0:1], -v[136:137]
	v_fma_f64 v[130:131], v[112:113], s[0:1], -v[130:131]
	v_fma_f64 v[136:137], v[122:123], s[0:1], v[136:137]
	v_add_f64 v[92:93], v[92:93], v[106:107]
	v_fma_f64 v[106:107], v[114:115], s[2:3], -v[88:89]
	v_add_f64 v[44:45], v[156:157], v[48:49]
	v_add_f64 v[110:111], v[146:147], v[152:153]
	;; [unrolled: 1-line block ×3, first 2 shown]
	v_fma_f64 v[48:49], v[114:115], s[0:1], v[60:61]
	v_add_f64 v[50:51], v[66:67], v[56:57]
	v_fma_f64 v[56:57], v[124:125], s[0:1], -v[76:77]
	v_add_f64 v[58:59], v[58:59], v[64:65]
	v_fma_f64 v[60:61], v[114:115], s[2:3], v[88:89]
	v_add_f64 v[38:39], v[70:71], v[38:39]
	v_fma_f64 v[64:65], v[124:125], s[2:3], -v[100:101]
	v_add_f64 v[36:37], v[74:75], v[36:37]
	v_fma_f64 v[66:67], v[112:113], s[2:3], -v[154:155]
	v_add_f64 v[70:71], v[118:119], v[108:109]
	v_add_f64 v[108:109], v[54:55], v[42:43]
	;; [unrolled: 1-line block ×3, first 2 shown]
	v_fma_f64 v[78:79], v[112:113], s[6:7], -v[62:63]
	v_fma_f64 v[74:75], v[122:123], s[2:3], v[148:149]
	v_fma_f64 v[142:143], v[112:113], s[2:3], v[154:155]
	v_fma_f64 v[170:171], v[122:123], s[2:3], -v[148:149]
	v_fma_f64 v[114:115], v[112:113], s[6:7], v[62:63]
	v_add_f64 v[88:89], v[90:91], v[92:93]
	v_fma_f64 v[92:93], v[112:113], s[18:19], -v[86:87]
	v_fma_f64 v[90:91], v[122:123], s[6:7], v[80:81]
	v_add_f64 v[100:101], v[106:107], v[110:111]
	v_fma_f64 v[106:107], v[122:123], s[18:19], v[94:95]
	v_add_f64 v[110:111], v[120:121], v[44:45]
	v_add_f64 v[102:103], v[102:103], v[46:47]
	v_add_f64 v[118:119], v[48:49], v[50:51]
	v_fma_f64 v[80:81], v[122:123], s[6:7], -v[80:81]
	v_add_f64 v[120:121], v[56:57], v[58:59]
	v_fma_f64 v[86:87], v[112:113], s[18:19], v[86:87]
	v_add_f64 v[112:113], v[60:61], v[38:39]
	v_fma_f64 v[94:95], v[122:123], s[18:19], -v[94:95]
	v_add_f64 v[122:123], v[64:65], v[36:37]
	v_add_f64 v[54:55], v[66:67], v[70:71]
	;; [unrolled: 1-line block ×23, first 2 shown]
	ds_write_b128 v254, v[64:67]
	ds_write_b128 v141, v[60:63] offset:384
	ds_write_b128 v141, v[56:59] offset:768
	;; [unrolled: 1-line block ×10, first 2 shown]
.LBB0_17:
	s_or_b32 exec_lo, exec_lo, s33
	s_waitcnt lgkmcnt(0)
	s_barrier
	buffer_gl0_inv
	ds_read_b128 v[32:35], v254
	ds_read_b128 v[36:39], v254 offset:528
	ds_read_b128 v[40:43], v141 offset:1056
	;; [unrolled: 1-line block ×5, first 2 shown]
	s_clause 0x7
	buffer_load_dword v0, off, s[40:43], 0
	buffer_load_dword v1, off, s[40:43], 0 offset:4
	buffer_load_dword v2, off, s[40:43], 0 offset:8
	;; [unrolled: 1-line block ×7, first 2 shown]
	ds_read_b128 v[56:59], v254 offset:3168
	ds_read_b128 v[60:63], v254 offset:3696
	s_clause 0x3
	buffer_load_dword v8, off, s[40:43], 0 offset:32
	buffer_load_dword v9, off, s[40:43], 0 offset:36
	;; [unrolled: 1-line block ×4, first 2 shown]
	v_mad_u64_u32 v[64:65], null, s10, v140, 0
	v_mad_u64_u32 v[66:67], null, s8, v193, 0
	s_mov_b32 s0, 0xf07c1f08
	s_mov_b32 s1, 0x3f6f07c1
	s_mul_i32 s2, s9, 0x210
	s_mul_hi_u32 s3, s8, 0x210
	s_add_i32 s3, s3, s2
	v_mad_u64_u32 v[72:73], null, s11, v140, v[65:66]
	s_mul_i32 s2, s8, 0x210
	s_waitcnt lgkmcnt(4)
	v_mul_f64 v[76:77], v[14:15], v[46:47]
	v_mul_f64 v[14:15], v[14:15], v[44:45]
	s_waitcnt lgkmcnt(3)
	v_mul_f64 v[78:79], v[18:19], v[50:51]
	v_mul_f64 v[18:19], v[18:19], v[48:49]
	;; [unrolled: 3-line block ×3, first 2 shown]
	v_mov_b32_e32 v65, v72
	v_fma_f64 v[14:15], v[12:13], v[46:47], -v[14:15]
	v_fma_f64 v[18:19], v[16:17], v[50:51], -v[18:19]
	v_fma_f64 v[22:23], v[20:21], v[54:55], -v[22:23]
	v_mul_f64 v[14:15], v[14:15], s[0:1]
	v_mul_f64 v[18:19], v[18:19], s[0:1]
	;; [unrolled: 1-line block ×3, first 2 shown]
	s_waitcnt vmcnt(8)
	v_mul_f64 v[68:69], v[2:3], v[34:35]
	v_mul_f64 v[2:3], v[2:3], v[32:33]
	s_waitcnt vmcnt(4)
	v_mul_f64 v[70:71], v[6:7], v[38:39]
	v_mul_f64 v[6:7], v[6:7], v[36:37]
	v_mad_u64_u32 v[73:74], null, s9, v193, v[67:68]
	s_waitcnt vmcnt(0)
	v_mul_f64 v[74:75], v[10:11], v[42:43]
	v_mul_f64 v[10:11], v[10:11], v[40:41]
	v_fma_f64 v[32:33], v[0:1], v[32:33], v[68:69]
	v_fma_f64 v[2:3], v[0:1], v[34:35], -v[2:3]
	v_fma_f64 v[34:35], v[4:5], v[36:37], v[70:71]
	s_waitcnt lgkmcnt(1)
	v_mul_f64 v[36:37], v[26:27], v[58:59]
	v_mul_f64 v[26:27], v[26:27], v[56:57]
	v_fma_f64 v[6:7], v[4:5], v[38:39], -v[6:7]
	s_waitcnt lgkmcnt(0)
	v_mul_f64 v[38:39], v[30:31], v[62:63]
	v_mul_f64 v[30:31], v[30:31], v[60:61]
	v_mov_b32_e32 v67, v73
	v_lshlrev_b64 v[0:1], 4, v[64:65]
	v_lshlrev_b64 v[4:5], 4, v[66:67]
	v_add_co_u32 v0, vcc_lo, s4, v0
	v_add_co_ci_u32_e32 v1, vcc_lo, s5, v1, vcc_lo
	v_fma_f64 v[40:41], v[8:9], v[40:41], v[74:75]
	v_add_co_u32 v64, vcc_lo, v0, v4
	v_fma_f64 v[10:11], v[8:9], v[42:43], -v[10:11]
	v_fma_f64 v[42:43], v[12:13], v[44:45], v[76:77]
	v_add_co_ci_u32_e32 v65, vcc_lo, v1, v5, vcc_lo
	v_mul_f64 v[0:1], v[32:33], s[0:1]
	v_fma_f64 v[32:33], v[16:17], v[48:49], v[78:79]
	v_mul_f64 v[4:5], v[34:35], s[0:1]
	v_fma_f64 v[34:35], v[20:21], v[52:53], v[80:81]
	v_fma_f64 v[36:37], v[24:25], v[56:57], v[36:37]
	v_fma_f64 v[26:27], v[24:25], v[58:59], -v[26:27]
	v_fma_f64 v[38:39], v[28:29], v[60:61], v[38:39]
	v_fma_f64 v[30:31], v[28:29], v[62:63], -v[30:31]
	v_mul_f64 v[2:3], v[2:3], s[0:1]
	v_add_co_u32 v44, vcc_lo, v64, s2
	v_add_co_ci_u32_e32 v45, vcc_lo, s3, v65, vcc_lo
	v_mul_f64 v[6:7], v[6:7], s[0:1]
	v_mul_f64 v[8:9], v[40:41], s[0:1]
	v_add_co_u32 v40, vcc_lo, v44, s2
	v_add_co_ci_u32_e32 v41, vcc_lo, s3, v45, vcc_lo
	v_mul_f64 v[12:13], v[42:43], s[0:1]
	v_add_co_u32 v42, vcc_lo, v40, s2
	v_mul_f64 v[10:11], v[10:11], s[0:1]
	v_add_co_ci_u32_e32 v43, vcc_lo, s3, v41, vcc_lo
	v_mul_f64 v[16:17], v[32:33], s[0:1]
	v_mul_f64 v[20:21], v[34:35], s[0:1]
	v_mul_f64 v[24:25], v[36:37], s[0:1]
	v_mul_f64 v[26:27], v[26:27], s[0:1]
	v_mul_f64 v[28:29], v[38:39], s[0:1]
	v_mul_f64 v[30:31], v[30:31], s[0:1]
	v_add_co_u32 v32, vcc_lo, v42, s2
	v_add_co_ci_u32_e32 v33, vcc_lo, s3, v43, vcc_lo
	global_store_dwordx4 v[64:65], v[0:3], off
	v_add_co_u32 v0, vcc_lo, v32, s2
	v_add_co_ci_u32_e32 v1, vcc_lo, s3, v33, vcc_lo
	global_store_dwordx4 v[44:45], v[4:7], off
	;; [unrolled: 3-line block ×4, first 2 shown]
	global_store_dwordx4 v[32:33], v[16:19], off
	global_store_dwordx4 v[0:1], v[20:23], off
	;; [unrolled: 1-line block ×4, first 2 shown]
.LBB0_18:
	s_endpgm
	.section	.rodata,"a",@progbits
	.p2align	6, 0x0
	.amdhsa_kernel bluestein_single_back_len264_dim1_dp_op_CI_CI
		.amdhsa_group_segment_fixed_size 29568
		.amdhsa_private_segment_fixed_size 120
		.amdhsa_kernarg_size 104
		.amdhsa_user_sgpr_count 6
		.amdhsa_user_sgpr_private_segment_buffer 1
		.amdhsa_user_sgpr_dispatch_ptr 0
		.amdhsa_user_sgpr_queue_ptr 0
		.amdhsa_user_sgpr_kernarg_segment_ptr 1
		.amdhsa_user_sgpr_dispatch_id 0
		.amdhsa_user_sgpr_flat_scratch_init 0
		.amdhsa_user_sgpr_private_segment_size 0
		.amdhsa_wavefront_size32 1
		.amdhsa_uses_dynamic_stack 0
		.amdhsa_system_sgpr_private_segment_wavefront_offset 1
		.amdhsa_system_sgpr_workgroup_id_x 1
		.amdhsa_system_sgpr_workgroup_id_y 0
		.amdhsa_system_sgpr_workgroup_id_z 0
		.amdhsa_system_sgpr_workgroup_info 0
		.amdhsa_system_vgpr_workitem_id 0
		.amdhsa_next_free_vgpr 256
		.amdhsa_next_free_sgpr 44
		.amdhsa_reserve_vcc 1
		.amdhsa_reserve_flat_scratch 0
		.amdhsa_float_round_mode_32 0
		.amdhsa_float_round_mode_16_64 0
		.amdhsa_float_denorm_mode_32 3
		.amdhsa_float_denorm_mode_16_64 3
		.amdhsa_dx10_clamp 1
		.amdhsa_ieee_mode 1
		.amdhsa_fp16_overflow 0
		.amdhsa_workgroup_processor_mode 1
		.amdhsa_memory_ordered 1
		.amdhsa_forward_progress 0
		.amdhsa_shared_vgpr_count 0
		.amdhsa_exception_fp_ieee_invalid_op 0
		.amdhsa_exception_fp_denorm_src 0
		.amdhsa_exception_fp_ieee_div_zero 0
		.amdhsa_exception_fp_ieee_overflow 0
		.amdhsa_exception_fp_ieee_underflow 0
		.amdhsa_exception_fp_ieee_inexact 0
		.amdhsa_exception_int_div_zero 0
	.end_amdhsa_kernel
	.text
.Lfunc_end0:
	.size	bluestein_single_back_len264_dim1_dp_op_CI_CI, .Lfunc_end0-bluestein_single_back_len264_dim1_dp_op_CI_CI
                                        ; -- End function
	.section	.AMDGPU.csdata,"",@progbits
; Kernel info:
; codeLenInByte = 12376
; NumSgprs: 46
; NumVgprs: 256
; ScratchSize: 120
; MemoryBound: 0
; FloatMode: 240
; IeeeMode: 1
; LDSByteSize: 29568 bytes/workgroup (compile time only)
; SGPRBlocks: 5
; VGPRBlocks: 31
; NumSGPRsForWavesPerEU: 46
; NumVGPRsForWavesPerEU: 256
; Occupancy: 4
; WaveLimiterHint : 1
; COMPUTE_PGM_RSRC2:SCRATCH_EN: 1
; COMPUTE_PGM_RSRC2:USER_SGPR: 6
; COMPUTE_PGM_RSRC2:TRAP_HANDLER: 0
; COMPUTE_PGM_RSRC2:TGID_X_EN: 1
; COMPUTE_PGM_RSRC2:TGID_Y_EN: 0
; COMPUTE_PGM_RSRC2:TGID_Z_EN: 0
; COMPUTE_PGM_RSRC2:TIDIG_COMP_CNT: 0
	.text
	.p2alignl 6, 3214868480
	.fill 48, 4, 3214868480
	.type	__hip_cuid_f69ea4b58cbb8c11,@object ; @__hip_cuid_f69ea4b58cbb8c11
	.section	.bss,"aw",@nobits
	.globl	__hip_cuid_f69ea4b58cbb8c11
__hip_cuid_f69ea4b58cbb8c11:
	.byte	0                               ; 0x0
	.size	__hip_cuid_f69ea4b58cbb8c11, 1

	.ident	"AMD clang version 19.0.0git (https://github.com/RadeonOpenCompute/llvm-project roc-6.4.0 25133 c7fe45cf4b819c5991fe208aaa96edf142730f1d)"
	.section	".note.GNU-stack","",@progbits
	.addrsig
	.addrsig_sym __hip_cuid_f69ea4b58cbb8c11
	.amdgpu_metadata
---
amdhsa.kernels:
  - .args:
      - .actual_access:  read_only
        .address_space:  global
        .offset:         0
        .size:           8
        .value_kind:     global_buffer
      - .actual_access:  read_only
        .address_space:  global
        .offset:         8
        .size:           8
        .value_kind:     global_buffer
      - .actual_access:  read_only
        .address_space:  global
        .offset:         16
        .size:           8
        .value_kind:     global_buffer
      - .actual_access:  read_only
        .address_space:  global
        .offset:         24
        .size:           8
        .value_kind:     global_buffer
      - .actual_access:  read_only
        .address_space:  global
        .offset:         32
        .size:           8
        .value_kind:     global_buffer
      - .offset:         40
        .size:           8
        .value_kind:     by_value
      - .address_space:  global
        .offset:         48
        .size:           8
        .value_kind:     global_buffer
      - .address_space:  global
        .offset:         56
        .size:           8
        .value_kind:     global_buffer
      - .address_space:  global
        .offset:         64
        .size:           8
        .value_kind:     global_buffer
      - .address_space:  global
        .offset:         72
        .size:           8
        .value_kind:     global_buffer
      - .offset:         80
        .size:           4
        .value_kind:     by_value
      - .address_space:  global
        .offset:         88
        .size:           8
        .value_kind:     global_buffer
      - .address_space:  global
        .offset:         96
        .size:           8
        .value_kind:     global_buffer
    .group_segment_fixed_size: 29568
    .kernarg_segment_align: 8
    .kernarg_segment_size: 104
    .language:       OpenCL C
    .language_version:
      - 2
      - 0
    .max_flat_workgroup_size: 231
    .name:           bluestein_single_back_len264_dim1_dp_op_CI_CI
    .private_segment_fixed_size: 120
    .sgpr_count:     46
    .sgpr_spill_count: 0
    .symbol:         bluestein_single_back_len264_dim1_dp_op_CI_CI.kd
    .uniform_work_group_size: 1
    .uses_dynamic_stack: false
    .vgpr_count:     256
    .vgpr_spill_count: 29
    .wavefront_size: 32
    .workgroup_processor_mode: 1
amdhsa.target:   amdgcn-amd-amdhsa--gfx1030
amdhsa.version:
  - 1
  - 2
...

	.end_amdgpu_metadata
